;; amdgpu-corpus repo=ROCm/rocFFT kind=compiled arch=gfx906 opt=O3
	.text
	.amdgcn_target "amdgcn-amd-amdhsa--gfx906"
	.amdhsa_code_object_version 6
	.protected	fft_rtc_back_len60_factors_6_10_wgs_60_tpt_10_halfLds_dp_ip_CI_unitstride_sbrr_C2R_dirReg ; -- Begin function fft_rtc_back_len60_factors_6_10_wgs_60_tpt_10_halfLds_dp_ip_CI_unitstride_sbrr_C2R_dirReg
	.globl	fft_rtc_back_len60_factors_6_10_wgs_60_tpt_10_halfLds_dp_ip_CI_unitstride_sbrr_C2R_dirReg
	.p2align	8
	.type	fft_rtc_back_len60_factors_6_10_wgs_60_tpt_10_halfLds_dp_ip_CI_unitstride_sbrr_C2R_dirReg,@function
fft_rtc_back_len60_factors_6_10_wgs_60_tpt_10_halfLds_dp_ip_CI_unitstride_sbrr_C2R_dirReg: ; @fft_rtc_back_len60_factors_6_10_wgs_60_tpt_10_halfLds_dp_ip_CI_unitstride_sbrr_C2R_dirReg
; %bb.0:
	s_load_dwordx2 s[2:3], s[4:5], 0x50
	s_load_dwordx4 s[8:11], s[4:5], 0x0
	s_load_dwordx2 s[12:13], s[4:5], 0x18
	v_mul_u32_u24_e32 v1, 0x199a, v0
	v_lshrrev_b32_e32 v1, 16, v1
	v_mad_u64_u32 v[1:2], s[0:1], s6, 6, v[1:2]
	v_mov_b32_e32 v5, 0
	s_waitcnt lgkmcnt(0)
	v_cmp_lt_u64_e64 s[0:1], s[10:11], 2
	v_mov_b32_e32 v2, v5
	v_mov_b32_e32 v3, 0
	;; [unrolled: 1-line block ×3, first 2 shown]
	s_and_b64 vcc, exec, s[0:1]
	v_mov_b32_e32 v4, 0
	v_mov_b32_e32 v9, v1
	s_cbranch_vccnz .LBB0_8
; %bb.1:
	s_load_dwordx2 s[0:1], s[4:5], 0x10
	s_add_u32 s6, s12, 8
	s_addc_u32 s7, s13, 0
	v_mov_b32_e32 v3, 0
	v_mov_b32_e32 v8, v2
	s_waitcnt lgkmcnt(0)
	s_add_u32 s16, s0, 8
	s_mov_b64 s[14:15], 1
	v_mov_b32_e32 v4, 0
	s_addc_u32 s17, s1, 0
	v_mov_b32_e32 v7, v1
.LBB0_2:                                ; =>This Inner Loop Header: Depth=1
	s_load_dwordx2 s[18:19], s[16:17], 0x0
                                        ; implicit-def: $vgpr9_vgpr10
	s_waitcnt lgkmcnt(0)
	v_or_b32_e32 v6, s19, v8
	v_cmp_ne_u64_e32 vcc, 0, v[5:6]
	s_and_saveexec_b64 s[0:1], vcc
	s_xor_b64 s[20:21], exec, s[0:1]
	s_cbranch_execz .LBB0_4
; %bb.3:                                ;   in Loop: Header=BB0_2 Depth=1
	v_cvt_f32_u32_e32 v2, s18
	v_cvt_f32_u32_e32 v6, s19
	s_sub_u32 s0, 0, s18
	s_subb_u32 s1, 0, s19
	v_mac_f32_e32 v2, 0x4f800000, v6
	v_rcp_f32_e32 v2, v2
	v_mul_f32_e32 v2, 0x5f7ffffc, v2
	v_mul_f32_e32 v6, 0x2f800000, v2
	v_trunc_f32_e32 v6, v6
	v_mac_f32_e32 v2, 0xcf800000, v6
	v_cvt_u32_f32_e32 v6, v6
	v_cvt_u32_f32_e32 v2, v2
	v_mul_lo_u32 v9, s0, v6
	v_mul_hi_u32 v10, s0, v2
	v_mul_lo_u32 v12, s1, v2
	v_mul_lo_u32 v11, s0, v2
	v_add_u32_e32 v9, v10, v9
	v_add_u32_e32 v9, v9, v12
	v_mul_hi_u32 v10, v2, v11
	v_mul_lo_u32 v12, v2, v9
	v_mul_hi_u32 v14, v2, v9
	v_mul_hi_u32 v13, v6, v11
	v_mul_lo_u32 v11, v6, v11
	v_mul_hi_u32 v15, v6, v9
	v_add_co_u32_e32 v10, vcc, v10, v12
	v_addc_co_u32_e32 v12, vcc, 0, v14, vcc
	v_mul_lo_u32 v9, v6, v9
	v_add_co_u32_e32 v10, vcc, v10, v11
	v_addc_co_u32_e32 v10, vcc, v12, v13, vcc
	v_addc_co_u32_e32 v11, vcc, 0, v15, vcc
	v_add_co_u32_e32 v9, vcc, v10, v9
	v_addc_co_u32_e32 v10, vcc, 0, v11, vcc
	v_add_co_u32_e32 v2, vcc, v2, v9
	v_addc_co_u32_e32 v6, vcc, v6, v10, vcc
	v_mul_lo_u32 v9, s0, v6
	v_mul_hi_u32 v10, s0, v2
	v_mul_lo_u32 v11, s1, v2
	v_mul_lo_u32 v12, s0, v2
	v_add_u32_e32 v9, v10, v9
	v_add_u32_e32 v9, v9, v11
	v_mul_lo_u32 v13, v2, v9
	v_mul_hi_u32 v14, v2, v12
	v_mul_hi_u32 v15, v2, v9
	;; [unrolled: 1-line block ×3, first 2 shown]
	v_mul_lo_u32 v12, v6, v12
	v_mul_hi_u32 v10, v6, v9
	v_add_co_u32_e32 v13, vcc, v14, v13
	v_addc_co_u32_e32 v14, vcc, 0, v15, vcc
	v_mul_lo_u32 v9, v6, v9
	v_add_co_u32_e32 v12, vcc, v13, v12
	v_addc_co_u32_e32 v11, vcc, v14, v11, vcc
	v_addc_co_u32_e32 v10, vcc, 0, v10, vcc
	v_add_co_u32_e32 v9, vcc, v11, v9
	v_addc_co_u32_e32 v10, vcc, 0, v10, vcc
	v_add_co_u32_e32 v2, vcc, v2, v9
	v_addc_co_u32_e32 v6, vcc, v6, v10, vcc
	v_mad_u64_u32 v[9:10], s[0:1], v7, v6, 0
	v_mul_hi_u32 v11, v7, v2
	v_add_co_u32_e32 v13, vcc, v11, v9
	v_addc_co_u32_e32 v14, vcc, 0, v10, vcc
	v_mad_u64_u32 v[9:10], s[0:1], v8, v2, 0
	v_mad_u64_u32 v[11:12], s[0:1], v8, v6, 0
	v_add_co_u32_e32 v2, vcc, v13, v9
	v_addc_co_u32_e32 v2, vcc, v14, v10, vcc
	v_addc_co_u32_e32 v6, vcc, 0, v12, vcc
	v_add_co_u32_e32 v2, vcc, v2, v11
	v_addc_co_u32_e32 v6, vcc, 0, v6, vcc
	v_mul_lo_u32 v11, s19, v2
	v_mul_lo_u32 v12, s18, v6
	v_mad_u64_u32 v[9:10], s[0:1], s18, v2, 0
	v_add3_u32 v10, v10, v12, v11
	v_sub_u32_e32 v11, v8, v10
	v_mov_b32_e32 v12, s19
	v_sub_co_u32_e32 v9, vcc, v7, v9
	v_subb_co_u32_e64 v11, s[0:1], v11, v12, vcc
	v_subrev_co_u32_e64 v12, s[0:1], s18, v9
	v_subbrev_co_u32_e64 v11, s[0:1], 0, v11, s[0:1]
	v_cmp_le_u32_e64 s[0:1], s19, v11
	v_cndmask_b32_e64 v13, 0, -1, s[0:1]
	v_cmp_le_u32_e64 s[0:1], s18, v12
	v_cndmask_b32_e64 v12, 0, -1, s[0:1]
	v_cmp_eq_u32_e64 s[0:1], s19, v11
	v_cndmask_b32_e64 v11, v13, v12, s[0:1]
	v_add_co_u32_e64 v12, s[0:1], 2, v2
	v_addc_co_u32_e64 v13, s[0:1], 0, v6, s[0:1]
	v_add_co_u32_e64 v14, s[0:1], 1, v2
	v_addc_co_u32_e64 v15, s[0:1], 0, v6, s[0:1]
	v_subb_co_u32_e32 v10, vcc, v8, v10, vcc
	v_cmp_ne_u32_e64 s[0:1], 0, v11
	v_cmp_le_u32_e32 vcc, s19, v10
	v_cndmask_b32_e64 v11, v15, v13, s[0:1]
	v_cndmask_b32_e64 v13, 0, -1, vcc
	v_cmp_le_u32_e32 vcc, s18, v9
	v_cndmask_b32_e64 v9, 0, -1, vcc
	v_cmp_eq_u32_e32 vcc, s19, v10
	v_cndmask_b32_e32 v9, v13, v9, vcc
	v_cmp_ne_u32_e32 vcc, 0, v9
	v_cndmask_b32_e32 v10, v6, v11, vcc
	v_cndmask_b32_e64 v6, v14, v12, s[0:1]
	v_cndmask_b32_e32 v9, v2, v6, vcc
.LBB0_4:                                ;   in Loop: Header=BB0_2 Depth=1
	s_andn2_saveexec_b64 s[0:1], s[20:21]
	s_cbranch_execz .LBB0_6
; %bb.5:                                ;   in Loop: Header=BB0_2 Depth=1
	v_cvt_f32_u32_e32 v2, s18
	s_sub_i32 s20, 0, s18
	v_rcp_iflag_f32_e32 v2, v2
	v_mul_f32_e32 v2, 0x4f7ffffe, v2
	v_cvt_u32_f32_e32 v2, v2
	v_mul_lo_u32 v6, s20, v2
	v_mul_hi_u32 v6, v2, v6
	v_add_u32_e32 v2, v2, v6
	v_mul_hi_u32 v2, v7, v2
	v_mul_lo_u32 v6, v2, s18
	v_add_u32_e32 v9, 1, v2
	v_sub_u32_e32 v6, v7, v6
	v_subrev_u32_e32 v10, s18, v6
	v_cmp_le_u32_e32 vcc, s18, v6
	v_cndmask_b32_e32 v6, v6, v10, vcc
	v_cndmask_b32_e32 v2, v2, v9, vcc
	v_add_u32_e32 v9, 1, v2
	v_cmp_le_u32_e32 vcc, s18, v6
	v_cndmask_b32_e32 v9, v2, v9, vcc
	v_mov_b32_e32 v10, v5
.LBB0_6:                                ;   in Loop: Header=BB0_2 Depth=1
	s_or_b64 exec, exec, s[0:1]
	v_mul_lo_u32 v2, v10, s18
	v_mul_lo_u32 v6, v9, s19
	v_mad_u64_u32 v[11:12], s[0:1], v9, s18, 0
	s_load_dwordx2 s[0:1], s[6:7], 0x0
	s_add_u32 s14, s14, 1
	v_add3_u32 v2, v12, v6, v2
	v_sub_co_u32_e32 v6, vcc, v7, v11
	v_subb_co_u32_e32 v2, vcc, v8, v2, vcc
	s_waitcnt lgkmcnt(0)
	v_mul_lo_u32 v2, s0, v2
	v_mul_lo_u32 v7, s1, v6
	v_mad_u64_u32 v[3:4], s[0:1], s0, v6, v[3:4]
	s_addc_u32 s15, s15, 0
	s_add_u32 s6, s6, 8
	v_add3_u32 v4, v7, v4, v2
	v_mov_b32_e32 v6, s10
	v_mov_b32_e32 v7, s11
	s_addc_u32 s7, s7, 0
	v_cmp_ge_u64_e32 vcc, s[14:15], v[6:7]
	s_add_u32 s16, s16, 8
	s_addc_u32 s17, s17, 0
	s_cbranch_vccnz .LBB0_8
; %bb.7:                                ;   in Loop: Header=BB0_2 Depth=1
	v_mov_b32_e32 v7, v9
	v_mov_b32_e32 v8, v10
	s_branch .LBB0_2
.LBB0_8:
	s_lshl_b64 s[0:1], s[10:11], 3
	s_add_u32 s0, s12, s0
	s_addc_u32 s1, s13, s1
	s_load_dwordx2 s[0:1], s[0:1], 0x0
	s_mov_b32 s6, 0xaaaaaaab
	v_mul_hi_u32 v2, v1, s6
	s_waitcnt lgkmcnt(0)
	v_mul_lo_u32 v5, s0, v10
	v_mul_lo_u32 v6, s1, v9
	v_mad_u64_u32 v[3:4], s[0:1], s0, v9, v[3:4]
	v_lshrrev_b32_e32 v2, 2, v2
	s_load_dwordx2 s[0:1], s[4:5], 0x20
	v_mul_lo_u32 v2, v2, 6
	s_mov_b32 s4, 0x1999999a
	v_add3_u32 v4, v6, v4, v5
	v_mul_hi_u32 v5, v0, s4
	v_sub_u32_e32 v1, v1, v2
	v_mul_u32_u24_e32 v2, 61, v1
	s_waitcnt lgkmcnt(0)
	v_cmp_gt_u64_e32 vcc, s[0:1], v[9:10]
	v_mul_u32_u24_e32 v1, 10, v5
	v_lshlrev_b64 v[46:47], 4, v[3:4]
	v_sub_u32_e32 v44, v0, v1
	v_lshlrev_b32_e32 v11, 4, v2
	s_and_saveexec_b64 s[4:5], vcc
	s_cbranch_execz .LBB0_12
; %bb.9:
	v_mov_b32_e32 v45, 0
	v_mov_b32_e32 v1, s3
	v_add_co_u32_e64 v0, s[0:1], s2, v46
	v_lshlrev_b64 v[3:4], 4, v[44:45]
	v_addc_co_u32_e64 v1, s[0:1], v1, v47, s[0:1]
	v_add_co_u32_e64 v8, s[0:1], v0, v3
	v_addc_co_u32_e64 v9, s[0:1], v1, v4, s[0:1]
	global_load_dwordx4 v[4:7], v[8:9], off
	global_load_dwordx4 v[12:15], v[8:9], off offset:160
	global_load_dwordx4 v[16:19], v[8:9], off offset:320
	;; [unrolled: 1-line block ×5, first 2 shown]
	v_lshlrev_b32_e32 v3, 4, v44
	v_add3_u32 v3, 0, v11, v3
	v_cmp_eq_u32_e64 s[0:1], 9, v44
	s_waitcnt vmcnt(5)
	ds_write_b128 v3, v[4:7]
	s_waitcnt vmcnt(4)
	ds_write_b128 v3, v[12:15] offset:160
	s_waitcnt vmcnt(3)
	ds_write_b128 v3, v[16:19] offset:320
	;; [unrolled: 2-line block ×5, first 2 shown]
	s_and_saveexec_b64 s[6:7], s[0:1]
	s_cbranch_execz .LBB0_11
; %bb.10:
	global_load_dwordx4 v[4:7], v[0:1], off offset:960
	v_mov_b32_e32 v44, 9
	s_waitcnt vmcnt(0)
	ds_write_b128 v3, v[4:7] offset:816
.LBB0_11:
	s_or_b64 exec, exec, s[6:7]
.LBB0_12:
	s_or_b64 exec, exec, s[4:5]
	v_lshl_add_u32 v48, v2, 4, 0
	v_lshlrev_b32_e32 v12, 4, v44
	v_add_u32_e32 v49, v48, v12
	s_waitcnt lgkmcnt(0)
	; wave barrier
	s_waitcnt lgkmcnt(0)
	v_sub_u32_e32 v10, v48, v12
	ds_read_b64 v[6:7], v49
	ds_read_b64 v[8:9], v10 offset:960
	v_cmp_ne_u32_e64 s[0:1], 0, v44
                                        ; implicit-def: $vgpr4_vgpr5
	s_waitcnt lgkmcnt(0)
	v_add_f64 v[0:1], v[6:7], v[8:9]
	v_add_f64 v[2:3], v[6:7], -v[8:9]
	s_and_saveexec_b64 s[4:5], s[0:1]
	s_xor_b64 s[4:5], exec, s[4:5]
	s_cbranch_execz .LBB0_14
; %bb.13:
	v_mov_b32_e32 v45, 0
	v_lshlrev_b64 v[0:1], 4, v[44:45]
	v_mov_b32_e32 v2, s9
	v_add_co_u32_e64 v0, s[0:1], s8, v0
	v_addc_co_u32_e64 v1, s[0:1], v2, v1, s[0:1]
	global_load_dwordx4 v[2:5], v[0:1], off offset:864
	ds_read_b64 v[0:1], v10 offset:968
	ds_read_b64 v[13:14], v49 offset:8
	v_add_f64 v[15:16], v[6:7], v[8:9]
	v_add_f64 v[8:9], v[6:7], -v[8:9]
	s_waitcnt lgkmcnt(0)
	v_add_f64 v[17:18], v[0:1], v[13:14]
	v_add_f64 v[0:1], v[13:14], -v[0:1]
	s_waitcnt vmcnt(0)
	v_fma_f64 v[6:7], -v[8:9], v[4:5], v[15:16]
	v_fma_f64 v[13:14], v[17:18], v[4:5], -v[0:1]
	v_fma_f64 v[15:16], v[8:9], v[4:5], v[15:16]
	v_fma_f64 v[19:20], v[17:18], v[4:5], v[0:1]
	;; [unrolled: 1-line block ×4, first 2 shown]
	v_fma_f64 v[0:1], -v[17:18], v[2:3], v[15:16]
	v_fma_f64 v[2:3], v[8:9], v[2:3], v[19:20]
	ds_write_b128 v10, v[4:7] offset:960
	v_mov_b32_e32 v4, v44
	v_mov_b32_e32 v5, v45
.LBB0_14:
	s_andn2_saveexec_b64 s[0:1], s[4:5]
	s_cbranch_execz .LBB0_16
; %bb.15:
	ds_read_b128 v[4:7], v48 offset:480
	s_waitcnt lgkmcnt(0)
	v_add_f64 v[13:14], v[4:5], v[4:5]
	v_mul_f64 v[15:16], v[6:7], -2.0
	v_mov_b32_e32 v4, 0
	v_mov_b32_e32 v5, 0
	ds_write_b128 v48, v[13:16] offset:480
.LBB0_16:
	s_or_b64 exec, exec, s[0:1]
	s_add_u32 s0, s8, 0x360
	v_lshlrev_b64 v[4:5], 4, v[4:5]
	s_addc_u32 s1, s9, 0
	v_mov_b32_e32 v6, s1
	v_add_co_u32_e64 v8, s[0:1], s0, v4
	v_addc_co_u32_e64 v9, s[0:1], v6, v5, s[0:1]
	global_load_dwordx4 v[4:7], v[8:9], off offset:160
	global_load_dwordx4 v[13:16], v[8:9], off offset:320
	ds_write_b128 v49, v[0:3]
	ds_read_b128 v[0:3], v49 offset:160
	ds_read_b128 v[17:20], v10 offset:800
	v_add3_u32 v45, 0, v12, v11
	s_mov_b32 s0, 0xe8584caa
	s_mov_b32 s1, 0xbfebb67a
	;; [unrolled: 1-line block ×3, first 2 shown]
	s_waitcnt lgkmcnt(0)
	v_add_f64 v[8:9], v[0:1], v[17:18]
	v_add_f64 v[21:22], v[19:20], v[2:3]
	v_add_f64 v[17:18], v[0:1], -v[17:18]
	v_add_f64 v[0:1], v[2:3], -v[19:20]
	s_mov_b32 s4, s0
	s_movk_i32 s6, 0x50
	v_mad_u32_u24 v40, v44, s6, v45
	s_waitcnt vmcnt(1)
	v_fma_f64 v[2:3], v[17:18], v[6:7], v[8:9]
	v_fma_f64 v[19:20], v[21:22], v[6:7], v[0:1]
	v_fma_f64 v[8:9], -v[17:18], v[6:7], v[8:9]
	v_fma_f64 v[23:24], v[21:22], v[6:7], -v[0:1]
	v_fma_f64 v[0:1], -v[21:22], v[4:5], v[2:3]
	v_fma_f64 v[2:3], v[17:18], v[4:5], v[19:20]
	v_fma_f64 v[6:7], v[21:22], v[4:5], v[8:9]
	;; [unrolled: 1-line block ×3, first 2 shown]
	ds_write_b128 v49, v[0:3] offset:160
	ds_write_b128 v10, v[6:9] offset:800
	ds_read_b128 v[0:3], v49 offset:320
	ds_read_b128 v[4:7], v10 offset:640
	s_waitcnt lgkmcnt(0)
	v_add_f64 v[8:9], v[0:1], v[4:5]
	v_add_f64 v[17:18], v[6:7], v[2:3]
	v_add_f64 v[19:20], v[0:1], -v[4:5]
	v_add_f64 v[0:1], v[2:3], -v[6:7]
	s_waitcnt vmcnt(0)
	v_fma_f64 v[2:3], v[19:20], v[15:16], v[8:9]
	v_fma_f64 v[4:5], v[17:18], v[15:16], v[0:1]
	v_fma_f64 v[6:7], -v[19:20], v[15:16], v[8:9]
	v_fma_f64 v[8:9], v[17:18], v[15:16], -v[0:1]
	v_fma_f64 v[0:1], -v[17:18], v[13:14], v[2:3]
	v_fma_f64 v[2:3], v[19:20], v[13:14], v[4:5]
	v_fma_f64 v[4:5], v[17:18], v[13:14], v[6:7]
	;; [unrolled: 1-line block ×3, first 2 shown]
	ds_write_b128 v49, v[0:3] offset:320
	ds_write_b128 v10, v[4:7] offset:640
	s_waitcnt lgkmcnt(0)
	; wave barrier
	s_waitcnt lgkmcnt(0)
	s_waitcnt lgkmcnt(0)
	; wave barrier
	s_waitcnt lgkmcnt(0)
	ds_read_b128 v[0:3], v45 offset:320
	ds_read_b128 v[4:7], v45 offset:480
	;; [unrolled: 1-line block ×4, first 2 shown]
	ds_read_b128 v[16:19], v49
	ds_read_b128 v[20:23], v45 offset:160
	s_waitcnt lgkmcnt(0)
	v_add_f64 v[30:31], v[0:1], v[8:9]
	v_add_f64 v[24:25], v[6:7], v[14:15]
	;; [unrolled: 1-line block ×5, first 2 shown]
	v_add_f64 v[4:5], v[4:5], -v[12:13]
	v_add_f64 v[28:29], v[18:19], v[2:3]
	v_add_f64 v[32:33], v[2:3], -v[10:11]
	v_add_f64 v[2:3], v[2:3], v[10:11]
	v_fma_f64 v[24:25], v[24:25], -0.5, v[22:23]
	v_add_f64 v[22:23], v[22:23], v[6:7]
	v_add_f64 v[38:39], v[0:1], -v[8:9]
	v_add_f64 v[6:7], v[6:7], -v[14:15]
	v_add_f64 v[8:9], v[26:27], v[8:9]
	v_fma_f64 v[20:21], v[36:37], -0.5, v[20:21]
	v_fma_f64 v[16:17], v[30:31], -0.5, v[16:17]
	;; [unrolled: 1-line block ×3, first 2 shown]
	v_fma_f64 v[26:27], v[4:5], s[4:5], v[24:25]
	v_fma_f64 v[4:5], v[4:5], s[0:1], v[24:25]
	v_add_f64 v[14:15], v[22:23], v[14:15]
	v_add_f64 v[12:13], v[34:35], v[12:13]
	;; [unrolled: 1-line block ×3, first 2 shown]
	v_fma_f64 v[22:23], v[6:7], s[0:1], v[20:21]
	v_fma_f64 v[6:7], v[6:7], s[4:5], v[20:21]
	;; [unrolled: 1-line block ×3, first 2 shown]
	v_mul_f64 v[24:25], v[26:27], s[0:1]
	v_mul_f64 v[26:27], v[26:27], 0.5
	v_mul_f64 v[20:21], v[4:5], s[0:1]
	v_mul_f64 v[4:5], v[4:5], -0.5
	v_fma_f64 v[30:31], v[38:39], s[4:5], v[18:19]
	v_add_f64 v[0:1], v[8:9], v[12:13]
	v_add_f64 v[2:3], v[10:11], v[14:15]
	v_add_f64 v[8:9], v[8:9], -v[12:13]
	v_fma_f64 v[24:25], v[22:23], 0.5, v[24:25]
	v_fma_f64 v[22:23], v[22:23], s[4:5], v[26:27]
	v_fma_f64 v[26:27], v[32:33], s[4:5], v[16:17]
	;; [unrolled: 1-line block ×3, first 2 shown]
	v_fma_f64 v[20:21], v[6:7], -0.5, v[20:21]
	v_fma_f64 v[34:35], v[6:7], s[4:5], v[4:5]
	v_add_f64 v[10:11], v[10:11], -v[14:15]
	v_cmp_gt_u32_e64 s[0:1], 6, v44
	v_add_f64 v[4:5], v[28:29], v[24:25]
	v_add_f64 v[6:7], v[30:31], v[22:23]
	v_add_f64 v[16:17], v[28:29], -v[24:25]
	v_add_f64 v[18:19], v[30:31], -v[22:23]
	v_add_f64 v[12:13], v[26:27], v[20:21]
	v_add_f64 v[14:15], v[32:33], v[34:35]
	v_add_f64 v[20:21], v[26:27], -v[20:21]
	v_add_f64 v[22:23], v[32:33], -v[34:35]
	; wave barrier
	ds_write_b128 v40, v[0:3]
	ds_write_b128 v40, v[8:11] offset:48
	ds_write_b128 v40, v[4:7] offset:16
	;; [unrolled: 1-line block ×5, first 2 shown]
	s_waitcnt lgkmcnt(0)
	; wave barrier
	s_waitcnt lgkmcnt(0)
                                        ; implicit-def: $vgpr38_vgpr39
                                        ; implicit-def: $vgpr34_vgpr35
                                        ; implicit-def: $vgpr30_vgpr31
                                        ; implicit-def: $vgpr26_vgpr27
	s_and_saveexec_b64 s[4:5], s[0:1]
	s_cbranch_execz .LBB0_18
; %bb.17:
	ds_read_b128 v[0:3], v49
	ds_read_b128 v[4:7], v45 offset:96
	ds_read_b128 v[12:15], v45 offset:192
	;; [unrolled: 1-line block ×9, first 2 shown]
.LBB0_18:
	s_or_b64 exec, exec, s[4:5]
	s_waitcnt lgkmcnt(0)
	; wave barrier
	s_waitcnt lgkmcnt(0)
	s_and_saveexec_b64 s[4:5], s[0:1]
	s_cbranch_execz .LBB0_20
; %bb.19:
	v_add_u32_e32 v40, -6, v44
	v_cndmask_b32_e64 v40, v40, v44, s[0:1]
	v_mul_i32_i24_e32 v40, 9, v40
	v_mov_b32_e32 v41, 0
	v_lshlrev_b64 v[40:41], 4, v[40:41]
	v_mov_b32_e32 v42, s9
	v_add_co_u32_e64 v82, s[0:1], s8, v40
	v_addc_co_u32_e64 v83, s[0:1], v42, v41, s[0:1]
	global_load_dwordx4 v[40:43], v[82:83], off offset:16
	global_load_dwordx4 v[50:53], v[82:83], off offset:112
	;; [unrolled: 1-line block ×6, first 2 shown]
	global_load_dwordx4 v[70:73], v[82:83], off
	global_load_dwordx4 v[74:77], v[82:83], off offset:48
	global_load_dwordx4 v[78:81], v[82:83], off offset:80
	s_mov_b32 s0, 0x134454ff
	s_mov_b32 s1, 0xbfee6f0e
	;; [unrolled: 1-line block ×14, first 2 shown]
	s_waitcnt vmcnt(8)
	v_mul_f64 v[82:83], v[12:13], v[42:43]
	v_mul_f64 v[42:43], v[14:15], v[42:43]
	s_waitcnt vmcnt(6)
	v_mul_f64 v[86:87], v[22:23], v[56:57]
	v_mul_f64 v[56:57], v[20:21], v[56:57]
	;; [unrolled: 3-line block ×3, first 2 shown]
	v_mul_f64 v[84:85], v[32:33], v[52:53]
	v_mul_f64 v[52:53], v[34:35], v[52:53]
	s_waitcnt vmcnt(4)
	v_mul_f64 v[90:91], v[10:11], v[64:65]
	v_mul_f64 v[64:65], v[8:9], v[64:65]
	s_waitcnt vmcnt(3)
	v_mul_f64 v[92:93], v[38:39], v[68:69]
	s_waitcnt vmcnt(2)
	v_mul_f64 v[94:95], v[4:5], v[72:73]
	v_mul_f64 v[68:69], v[36:37], v[68:69]
	s_waitcnt vmcnt(1)
	v_mul_f64 v[96:97], v[16:17], v[76:77]
	v_mul_f64 v[72:73], v[6:7], v[72:73]
	;; [unrolled: 1-line block ×3, first 2 shown]
	s_waitcnt vmcnt(0)
	v_mul_f64 v[98:99], v[24:25], v[80:81]
	v_mul_f64 v[80:81], v[26:27], v[80:81]
	v_fma_f64 v[22:23], v[22:23], v[54:55], -v[56:57]
	v_fma_f64 v[30:31], v[30:31], v[58:59], -v[60:61]
	;; [unrolled: 1-line block ×3, first 2 shown]
	v_fma_f64 v[12:13], v[12:13], v[40:41], v[42:43]
	v_fma_f64 v[34:35], v[34:35], v[50:51], -v[84:85]
	v_fma_f64 v[32:33], v[32:33], v[50:51], v[52:53]
	v_fma_f64 v[20:21], v[20:21], v[54:55], v[86:87]
	;; [unrolled: 1-line block ×4, first 2 shown]
	v_fma_f64 v[10:11], v[10:11], v[62:63], -v[64:65]
	v_fma_f64 v[36:37], v[36:37], v[66:67], v[92:93]
	v_fma_f64 v[40:41], v[6:7], v[70:71], -v[94:95]
	v_fma_f64 v[38:39], v[38:39], v[66:67], -v[68:69]
	v_fma_f64 v[42:43], v[4:5], v[70:71], v[72:73]
	v_fma_f64 v[18:19], v[18:19], v[74:75], -v[96:97]
	v_fma_f64 v[16:17], v[16:17], v[74:75], v[76:77]
	;; [unrolled: 2-line block ×3, first 2 shown]
	v_add_f64 v[4:5], v[22:23], v[30:31]
	v_add_f64 v[6:7], v[20:21], v[28:29]
	v_add_f64 v[50:51], v[8:9], -v[36:37]
	v_add_f64 v[52:53], v[10:11], -v[22:23]
	;; [unrolled: 1-line block ×9, first 2 shown]
	v_add_f64 v[76:77], v[16:17], v[24:25]
	v_add_f64 v[88:89], v[12:13], v[32:33]
	v_fma_f64 v[4:5], v[4:5], -0.5, v[40:41]
	v_add_f64 v[56:57], v[20:21], -v[28:29]
	v_add_f64 v[58:59], v[10:11], -v[38:39]
	v_add_f64 v[74:75], v[18:19], v[26:27]
	v_add_f64 v[82:83], v[14:15], -v[34:35]
	v_add_f64 v[86:87], v[14:15], v[34:35]
	v_add_f64 v[90:91], v[2:3], v[14:15]
	;; [unrolled: 1-line block ×3, first 2 shown]
	v_add_f64 v[14:15], v[18:19], -v[14:15]
	v_add_f64 v[94:95], v[26:27], -v[34:35]
	v_add_f64 v[106:107], v[10:11], v[38:39]
	v_fma_f64 v[6:7], v[6:7], -0.5, v[42:43]
	v_add_f64 v[52:53], v[52:53], v[54:55]
	v_add_f64 v[54:55], v[60:61], v[62:63]
	;; [unrolled: 1-line block ×4, first 2 shown]
	v_fma_f64 v[68:69], v[76:77], -0.5, v[0:1]
	v_fma_f64 v[72:73], v[88:89], -0.5, v[0:1]
	v_fma_f64 v[0:1], v[50:51], s[0:1], v[4:5]
	v_add_f64 v[64:65], v[22:23], -v[30:31]
	v_add_f64 v[96:97], v[20:21], -v[8:9]
	;; [unrolled: 1-line block ×3, first 2 shown]
	v_add_f64 v[108:109], v[8:9], v[36:37]
	v_fma_f64 v[66:67], v[74:75], -0.5, v[2:3]
	v_fma_f64 v[70:71], v[86:87], -0.5, v[2:3]
	v_add_f64 v[74:75], v[14:15], v[94:95]
	v_fma_f64 v[14:15], v[106:107], -0.5, v[40:41]
	v_fma_f64 v[2:3], v[58:59], s[6:7], v[6:7]
	v_fma_f64 v[0:1], v[56:57], s[8:9], v[0:1]
	v_add_f64 v[84:85], v[18:19], -v[26:27]
	v_add_f64 v[100:101], v[22:23], -v[10:11]
	;; [unrolled: 1-line block ×3, first 2 shown]
	v_add_f64 v[76:77], v[96:97], v[98:99]
	v_fma_f64 v[88:89], v[108:109], -0.5, v[42:43]
	v_fma_f64 v[96:97], v[56:57], s[6:7], v[14:15]
	v_fma_f64 v[98:99], v[82:83], s[6:7], v[68:69]
	;; [unrolled: 1-line block ×6, first 2 shown]
	v_add_f64 v[78:79], v[12:13], -v[32:33]
	v_add_f64 v[80:81], v[16:17], -v[24:25]
	v_add_f64 v[86:87], v[100:101], v[102:103]
	v_fma_f64 v[6:7], v[58:59], s[0:1], v[6:7]
	v_fma_f64 v[100:101], v[64:65], s[0:1], v[88:89]
	v_fma_f64 v[96:97], v[50:51], s[8:9], v[96:97]
	v_fma_f64 v[98:99], v[84:85], s[12:13], v[98:99]
	v_fma_f64 v[2:3], v[54:55], s[10:11], v[2:3]
	v_mul_f64 v[102:103], v[0:1], s[14:15]
	v_mul_f64 v[0:1], v[0:1], s[8:9]
	v_fma_f64 v[4:5], v[56:57], s[12:13], v[4:5]
	v_fma_f64 v[68:69], v[84:85], s[8:9], v[68:69]
	;; [unrolled: 1-line block ×3, first 2 shown]
	v_add_f64 v[12:13], v[16:17], -v[12:13]
	v_add_f64 v[104:105], v[24:25], -v[32:33]
	v_fma_f64 v[66:67], v[78:79], s[6:7], v[66:67]
	v_fma_f64 v[100:101], v[58:59], s[12:13], v[100:101]
	;; [unrolled: 1-line block ×9, first 2 shown]
	v_add_f64 v[10:11], v[40:41], v[10:11]
	v_fma_f64 v[14:15], v[56:57], s[0:1], v[14:15]
	v_fma_f64 v[94:95], v[80:81], s[8:9], v[94:95]
	v_add_f64 v[8:9], v[42:43], v[8:9]
	s_mov_b32 s15, 0x3fe9e377
	v_add_f64 v[12:13], v[12:13], v[104:105]
	v_fma_f64 v[66:67], v[80:81], s[12:13], v[66:67]
	v_fma_f64 v[100:101], v[76:77], s[10:11], v[100:101]
	v_mul_f64 v[104:105], v[96:97], s[16:17]
	v_fma_f64 v[54:55], v[54:55], s[10:11], v[6:7]
	v_add_f64 v[0:1], v[98:99], -v[106:107]
	v_add_f64 v[4:5], v[98:99], v[106:107]
	v_mul_f64 v[98:99], v[52:53], s[14:15]
	v_mul_f64 v[52:53], v[52:53], s[8:9]
	v_add_f64 v[18:19], v[90:91], v[18:19]
	v_fma_f64 v[40:41], v[78:79], s[8:9], v[68:69]
	v_add_f64 v[22:23], v[10:11], v[22:23]
	v_fma_f64 v[10:11], v[64:65], s[6:7], v[88:89]
	v_fma_f64 v[14:15], v[50:51], s[12:13], v[14:15]
	;; [unrolled: 1-line block ×4, first 2 shown]
	v_add_f64 v[16:17], v[92:93], v[16:17]
	v_add_f64 v[20:21], v[8:9], v[20:21]
	v_fma_f64 v[60:61], v[60:61], s[10:11], v[66:67]
	v_mul_f64 v[66:67], v[96:97], s[0:1]
	v_fma_f64 v[96:97], v[100:101], s[6:7], v[104:105]
	v_fma_f64 v[56:57], v[54:55], s[12:13], v[98:99]
	;; [unrolled: 1-line block ×4, first 2 shown]
	v_add_f64 v[18:19], v[18:19], v[26:27]
	v_fma_f64 v[26:27], v[80:81], s[0:1], v[70:71]
	v_fma_f64 v[50:51], v[84:85], s[6:7], v[72:73]
	;; [unrolled: 1-line block ×4, first 2 shown]
	v_add_f64 v[2:3], v[94:95], -v[102:103]
	v_add_f64 v[6:7], v[94:95], v[102:103]
	v_fma_f64 v[94:95], v[84:85], s[0:1], v[72:73]
	v_add_f64 v[22:23], v[22:23], v[30:31]
	v_add_f64 v[16:17], v[16:17], v[24:25]
	;; [unrolled: 1-line block ×3, first 2 shown]
	v_add_f64 v[10:11], v[40:41], -v[96:97]
	v_add_f64 v[14:15], v[40:41], v[96:97]
	v_fma_f64 v[24:25], v[78:79], s[12:13], v[26:27]
	v_fma_f64 v[26:27], v[82:83], s[8:9], v[50:51]
	;; [unrolled: 1-line block ×3, first 2 shown]
	v_mul_f64 v[30:31], v[58:59], s[10:11]
	v_mul_f64 v[40:41], v[58:59], s[0:1]
	v_fma_f64 v[42:43], v[82:83], s[12:13], v[94:95]
	v_add_f64 v[34:35], v[18:19], v[34:35]
	v_add_f64 v[38:39], v[22:23], v[38:39]
	;; [unrolled: 1-line block ×4, first 2 shown]
	v_fma_f64 v[50:51], v[74:75], s[10:11], v[24:25]
	v_fma_f64 v[54:55], v[12:13], s[10:11], v[26:27]
	;; [unrolled: 1-line block ×6, first 2 shown]
	v_add_f64 v[26:27], v[34:35], v[38:39]
	v_add_f64 v[24:25], v[32:33], v[36:37]
	;; [unrolled: 1-line block ×6, first 2 shown]
	v_add_f64 v[34:35], v[34:35], -v[38:39]
	v_add_f64 v[12:13], v[42:43], v[66:67]
	v_add_f64 v[32:33], v[32:33], -v[36:37]
	v_add_f64 v[18:19], v[60:61], -v[56:57]
	;; [unrolled: 1-line block ×6, first 2 shown]
	ds_write_b128 v49, v[24:27]
	ds_write_b128 v45, v[20:23] offset:96
	ds_write_b128 v45, v[28:31] offset:192
	;; [unrolled: 1-line block ×9, first 2 shown]
.LBB0_20:
	s_or_b64 exec, exec, s[4:5]
	s_waitcnt lgkmcnt(0)
	; wave barrier
	s_waitcnt lgkmcnt(0)
	s_and_saveexec_b64 s[0:1], vcc
	s_cbranch_execz .LBB0_22
; %bb.21:
	v_lshl_add_u32 v10, v44, 4, v48
	v_mov_b32_e32 v45, 0
	ds_read_b128 v[0:3], v10
	v_mov_b32_e32 v4, s3
	v_add_co_u32_e32 v11, vcc, s2, v46
	v_addc_co_u32_e32 v12, vcc, v4, v47, vcc
	v_lshlrev_b64 v[4:5], 4, v[44:45]
	v_add_co_u32_e32 v8, vcc, v11, v4
	v_addc_co_u32_e32 v9, vcc, v12, v5, vcc
	ds_read_b128 v[4:7], v10 offset:160
	s_waitcnt lgkmcnt(1)
	global_store_dwordx4 v[8:9], v[0:3], off
	s_nop 0
	v_add_u32_e32 v0, 10, v44
	v_mov_b32_e32 v1, v45
	v_lshlrev_b64 v[0:1], 4, v[0:1]
	v_add_co_u32_e32 v0, vcc, v11, v0
	v_addc_co_u32_e32 v1, vcc, v12, v1, vcc
	s_waitcnt lgkmcnt(0)
	global_store_dwordx4 v[0:1], v[4:7], off
	ds_read_b128 v[0:3], v10 offset:320
	v_add_u32_e32 v4, 20, v44
	v_mov_b32_e32 v5, v45
	v_lshlrev_b64 v[4:5], 4, v[4:5]
	v_add_co_u32_e32 v8, vcc, v11, v4
	v_addc_co_u32_e32 v9, vcc, v12, v5, vcc
	ds_read_b128 v[4:7], v10 offset:480
	s_waitcnt lgkmcnt(1)
	global_store_dwordx4 v[8:9], v[0:3], off
	s_nop 0
	v_add_u32_e32 v0, 30, v44
	v_mov_b32_e32 v1, v45
	v_lshlrev_b64 v[0:1], 4, v[0:1]
	v_add_co_u32_e32 v0, vcc, v11, v0
	v_addc_co_u32_e32 v1, vcc, v12, v1, vcc
	s_waitcnt lgkmcnt(0)
	global_store_dwordx4 v[0:1], v[4:7], off
	ds_read_b128 v[0:3], v10 offset:640
	v_add_u32_e32 v4, 40, v44
	v_mov_b32_e32 v5, v45
	v_lshlrev_b64 v[4:5], 4, v[4:5]
	v_add_u32_e32 v44, 50, v44
	v_add_co_u32_e32 v8, vcc, v11, v4
	v_addc_co_u32_e32 v9, vcc, v12, v5, vcc
	ds_read_b128 v[4:7], v10 offset:800
	s_waitcnt lgkmcnt(1)
	global_store_dwordx4 v[8:9], v[0:3], off
	s_nop 0
	v_lshlrev_b64 v[0:1], 4, v[44:45]
	v_add_co_u32_e32 v0, vcc, v11, v0
	v_addc_co_u32_e32 v1, vcc, v12, v1, vcc
	s_waitcnt lgkmcnt(0)
	global_store_dwordx4 v[0:1], v[4:7], off
.LBB0_22:
	s_endpgm
	.section	.rodata,"a",@progbits
	.p2align	6, 0x0
	.amdhsa_kernel fft_rtc_back_len60_factors_6_10_wgs_60_tpt_10_halfLds_dp_ip_CI_unitstride_sbrr_C2R_dirReg
		.amdhsa_group_segment_fixed_size 0
		.amdhsa_private_segment_fixed_size 0
		.amdhsa_kernarg_size 88
		.amdhsa_user_sgpr_count 6
		.amdhsa_user_sgpr_private_segment_buffer 1
		.amdhsa_user_sgpr_dispatch_ptr 0
		.amdhsa_user_sgpr_queue_ptr 0
		.amdhsa_user_sgpr_kernarg_segment_ptr 1
		.amdhsa_user_sgpr_dispatch_id 0
		.amdhsa_user_sgpr_flat_scratch_init 0
		.amdhsa_user_sgpr_private_segment_size 0
		.amdhsa_uses_dynamic_stack 0
		.amdhsa_system_sgpr_private_segment_wavefront_offset 0
		.amdhsa_system_sgpr_workgroup_id_x 1
		.amdhsa_system_sgpr_workgroup_id_y 0
		.amdhsa_system_sgpr_workgroup_id_z 0
		.amdhsa_system_sgpr_workgroup_info 0
		.amdhsa_system_vgpr_workitem_id 0
		.amdhsa_next_free_vgpr 110
		.amdhsa_next_free_sgpr 22
		.amdhsa_reserve_vcc 1
		.amdhsa_reserve_flat_scratch 0
		.amdhsa_float_round_mode_32 0
		.amdhsa_float_round_mode_16_64 0
		.amdhsa_float_denorm_mode_32 3
		.amdhsa_float_denorm_mode_16_64 3
		.amdhsa_dx10_clamp 1
		.amdhsa_ieee_mode 1
		.amdhsa_fp16_overflow 0
		.amdhsa_exception_fp_ieee_invalid_op 0
		.amdhsa_exception_fp_denorm_src 0
		.amdhsa_exception_fp_ieee_div_zero 0
		.amdhsa_exception_fp_ieee_overflow 0
		.amdhsa_exception_fp_ieee_underflow 0
		.amdhsa_exception_fp_ieee_inexact 0
		.amdhsa_exception_int_div_zero 0
	.end_amdhsa_kernel
	.text
.Lfunc_end0:
	.size	fft_rtc_back_len60_factors_6_10_wgs_60_tpt_10_halfLds_dp_ip_CI_unitstride_sbrr_C2R_dirReg, .Lfunc_end0-fft_rtc_back_len60_factors_6_10_wgs_60_tpt_10_halfLds_dp_ip_CI_unitstride_sbrr_C2R_dirReg
                                        ; -- End function
	.section	.AMDGPU.csdata,"",@progbits
; Kernel info:
; codeLenInByte = 4852
; NumSgprs: 26
; NumVgprs: 110
; ScratchSize: 0
; MemoryBound: 0
; FloatMode: 240
; IeeeMode: 1
; LDSByteSize: 0 bytes/workgroup (compile time only)
; SGPRBlocks: 3
; VGPRBlocks: 27
; NumSGPRsForWavesPerEU: 26
; NumVGPRsForWavesPerEU: 110
; Occupancy: 2
; WaveLimiterHint : 1
; COMPUTE_PGM_RSRC2:SCRATCH_EN: 0
; COMPUTE_PGM_RSRC2:USER_SGPR: 6
; COMPUTE_PGM_RSRC2:TRAP_HANDLER: 0
; COMPUTE_PGM_RSRC2:TGID_X_EN: 1
; COMPUTE_PGM_RSRC2:TGID_Y_EN: 0
; COMPUTE_PGM_RSRC2:TGID_Z_EN: 0
; COMPUTE_PGM_RSRC2:TIDIG_COMP_CNT: 0
	.type	__hip_cuid_2f5a148e83c6e96a,@object ; @__hip_cuid_2f5a148e83c6e96a
	.section	.bss,"aw",@nobits
	.globl	__hip_cuid_2f5a148e83c6e96a
__hip_cuid_2f5a148e83c6e96a:
	.byte	0                               ; 0x0
	.size	__hip_cuid_2f5a148e83c6e96a, 1

	.ident	"AMD clang version 19.0.0git (https://github.com/RadeonOpenCompute/llvm-project roc-6.4.0 25133 c7fe45cf4b819c5991fe208aaa96edf142730f1d)"
	.section	".note.GNU-stack","",@progbits
	.addrsig
	.addrsig_sym __hip_cuid_2f5a148e83c6e96a
	.amdgpu_metadata
---
amdhsa.kernels:
  - .args:
      - .actual_access:  read_only
        .address_space:  global
        .offset:         0
        .size:           8
        .value_kind:     global_buffer
      - .offset:         8
        .size:           8
        .value_kind:     by_value
      - .actual_access:  read_only
        .address_space:  global
        .offset:         16
        .size:           8
        .value_kind:     global_buffer
      - .actual_access:  read_only
        .address_space:  global
        .offset:         24
        .size:           8
        .value_kind:     global_buffer
      - .offset:         32
        .size:           8
        .value_kind:     by_value
      - .actual_access:  read_only
        .address_space:  global
        .offset:         40
        .size:           8
        .value_kind:     global_buffer
      - .actual_access:  read_only
        .address_space:  global
        .offset:         48
        .size:           8
        .value_kind:     global_buffer
      - .offset:         56
        .size:           4
        .value_kind:     by_value
      - .actual_access:  read_only
        .address_space:  global
        .offset:         64
        .size:           8
        .value_kind:     global_buffer
      - .actual_access:  read_only
        .address_space:  global
        .offset:         72
        .size:           8
        .value_kind:     global_buffer
      - .address_space:  global
        .offset:         80
        .size:           8
        .value_kind:     global_buffer
    .group_segment_fixed_size: 0
    .kernarg_segment_align: 8
    .kernarg_segment_size: 88
    .language:       OpenCL C
    .language_version:
      - 2
      - 0
    .max_flat_workgroup_size: 60
    .name:           fft_rtc_back_len60_factors_6_10_wgs_60_tpt_10_halfLds_dp_ip_CI_unitstride_sbrr_C2R_dirReg
    .private_segment_fixed_size: 0
    .sgpr_count:     26
    .sgpr_spill_count: 0
    .symbol:         fft_rtc_back_len60_factors_6_10_wgs_60_tpt_10_halfLds_dp_ip_CI_unitstride_sbrr_C2R_dirReg.kd
    .uniform_work_group_size: 1
    .uses_dynamic_stack: false
    .vgpr_count:     110
    .vgpr_spill_count: 0
    .wavefront_size: 64
amdhsa.target:   amdgcn-amd-amdhsa--gfx906
amdhsa.version:
  - 1
  - 2
...

	.end_amdgpu_metadata
